;; amdgpu-corpus repo=ROCm/rocFFT kind=compiled arch=gfx1201 opt=O3
	.text
	.amdgcn_target "amdgcn-amd-amdhsa--gfx1201"
	.amdhsa_code_object_version 6
	.protected	fft_rtc_back_len1386_factors_2_7_3_11_3_wgs_231_tpt_231_halfLds_half_op_CI_CI_sbrr_dirReg ; -- Begin function fft_rtc_back_len1386_factors_2_7_3_11_3_wgs_231_tpt_231_halfLds_half_op_CI_CI_sbrr_dirReg
	.globl	fft_rtc_back_len1386_factors_2_7_3_11_3_wgs_231_tpt_231_halfLds_half_op_CI_CI_sbrr_dirReg
	.p2align	8
	.type	fft_rtc_back_len1386_factors_2_7_3_11_3_wgs_231_tpt_231_halfLds_half_op_CI_CI_sbrr_dirReg,@function
fft_rtc_back_len1386_factors_2_7_3_11_3_wgs_231_tpt_231_halfLds_half_op_CI_CI_sbrr_dirReg: ; @fft_rtc_back_len1386_factors_2_7_3_11_3_wgs_231_tpt_231_halfLds_half_op_CI_CI_sbrr_dirReg
; %bb.0:
	s_clause 0x2
	s_load_b128 s[12:15], s[0:1], 0x18
	s_load_b128 s[8:11], s[0:1], 0x0
	;; [unrolled: 1-line block ×3, first 2 shown]
	v_mul_u32_u24_e32 v1, 0x11c, v0
	v_mov_b32_e32 v7, 0
	v_mov_b32_e32 v5, 0
	;; [unrolled: 1-line block ×3, first 2 shown]
	s_wait_kmcnt 0x0
	s_load_b64 s[18:19], s[12:13], 0x0
	s_load_b64 s[16:17], s[14:15], 0x0
	v_lshrrev_b32_e32 v1, 16, v1
	v_cmp_lt_u64_e64 s2, s[10:11], 2
	s_delay_alu instid0(VALU_DEP_2) | instskip(NEXT) | instid1(VALU_DEP_2)
	v_dual_mov_b32 v10, v7 :: v_dual_add_nc_u32 v9, ttmp9, v1
	s_and_b32 vcc_lo, exec_lo, s2
	s_cbranch_vccnz .LBB0_8
; %bb.1:
	s_load_b64 s[2:3], s[0:1], 0x10
	v_mov_b32_e32 v5, 0
	v_mov_b32_e32 v6, 0
	s_delay_alu instid0(VALU_DEP_2)
	v_mov_b32_e32 v1, v5
	s_add_nc_u64 s[20:21], s[14:15], 8
	s_add_nc_u64 s[22:23], s[12:13], 8
	s_mov_b64 s[24:25], 1
	v_mov_b32_e32 v2, v6
	s_wait_kmcnt 0x0
	s_add_nc_u64 s[26:27], s[2:3], 8
	s_mov_b32 s3, 0
.LBB0_2:                                ; =>This Inner Loop Header: Depth=1
	s_load_b64 s[28:29], s[26:27], 0x0
                                        ; implicit-def: $vgpr3_vgpr4
	s_mov_b32 s2, exec_lo
	s_wait_kmcnt 0x0
	v_or_b32_e32 v8, s29, v10
	s_delay_alu instid0(VALU_DEP_1)
	v_cmpx_ne_u64_e32 0, v[7:8]
	s_wait_alu 0xfffe
	s_xor_b32 s30, exec_lo, s2
	s_cbranch_execz .LBB0_4
; %bb.3:                                ;   in Loop: Header=BB0_2 Depth=1
	s_cvt_f32_u32 s2, s28
	s_cvt_f32_u32 s31, s29
	s_sub_nc_u64 s[36:37], 0, s[28:29]
	s_wait_alu 0xfffe
	s_delay_alu instid0(SALU_CYCLE_1) | instskip(SKIP_1) | instid1(SALU_CYCLE_2)
	s_fmamk_f32 s2, s31, 0x4f800000, s2
	s_wait_alu 0xfffe
	v_s_rcp_f32 s2, s2
	s_delay_alu instid0(TRANS32_DEP_1) | instskip(SKIP_1) | instid1(SALU_CYCLE_2)
	s_mul_f32 s2, s2, 0x5f7ffffc
	s_wait_alu 0xfffe
	s_mul_f32 s31, s2, 0x2f800000
	s_wait_alu 0xfffe
	s_delay_alu instid0(SALU_CYCLE_2) | instskip(SKIP_1) | instid1(SALU_CYCLE_2)
	s_trunc_f32 s31, s31
	s_wait_alu 0xfffe
	s_fmamk_f32 s2, s31, 0xcf800000, s2
	s_cvt_u32_f32 s35, s31
	s_wait_alu 0xfffe
	s_delay_alu instid0(SALU_CYCLE_1) | instskip(SKIP_1) | instid1(SALU_CYCLE_2)
	s_cvt_u32_f32 s34, s2
	s_wait_alu 0xfffe
	s_mul_u64 s[38:39], s[36:37], s[34:35]
	s_wait_alu 0xfffe
	s_mul_hi_u32 s41, s34, s39
	s_mul_i32 s40, s34, s39
	s_mul_hi_u32 s2, s34, s38
	s_mul_i32 s33, s35, s38
	s_wait_alu 0xfffe
	s_add_nc_u64 s[40:41], s[2:3], s[40:41]
	s_mul_hi_u32 s31, s35, s38
	s_mul_hi_u32 s42, s35, s39
	s_add_co_u32 s2, s40, s33
	s_wait_alu 0xfffe
	s_add_co_ci_u32 s2, s41, s31
	s_mul_i32 s38, s35, s39
	s_add_co_ci_u32 s39, s42, 0
	s_wait_alu 0xfffe
	s_add_nc_u64 s[38:39], s[2:3], s[38:39]
	s_wait_alu 0xfffe
	v_add_co_u32 v3, s2, s34, s38
	s_delay_alu instid0(VALU_DEP_1) | instskip(SKIP_1) | instid1(VALU_DEP_1)
	s_cmp_lg_u32 s2, 0
	s_add_co_ci_u32 s35, s35, s39
	v_readfirstlane_b32 s34, v3
	s_wait_alu 0xfffe
	s_delay_alu instid0(VALU_DEP_1)
	s_mul_u64 s[36:37], s[36:37], s[34:35]
	s_wait_alu 0xfffe
	s_mul_hi_u32 s39, s34, s37
	s_mul_i32 s38, s34, s37
	s_mul_hi_u32 s2, s34, s36
	s_mul_i32 s33, s35, s36
	s_wait_alu 0xfffe
	s_add_nc_u64 s[38:39], s[2:3], s[38:39]
	s_mul_hi_u32 s31, s35, s36
	s_mul_hi_u32 s34, s35, s37
	s_wait_alu 0xfffe
	s_add_co_u32 s2, s38, s33
	s_add_co_ci_u32 s2, s39, s31
	s_mul_i32 s36, s35, s37
	s_add_co_ci_u32 s37, s34, 0
	s_wait_alu 0xfffe
	s_add_nc_u64 s[36:37], s[2:3], s[36:37]
	s_wait_alu 0xfffe
	v_add_co_u32 v8, s2, v3, s36
	s_delay_alu instid0(VALU_DEP_1) | instskip(SKIP_1) | instid1(VALU_DEP_1)
	s_cmp_lg_u32 s2, 0
	s_add_co_ci_u32 s2, s35, s37
	v_mul_hi_u32 v15, v9, v8
	s_wait_alu 0xfffe
	v_mad_co_u64_u32 v[3:4], null, v9, s2, 0
	v_mad_co_u64_u32 v[11:12], null, v10, v8, 0
	;; [unrolled: 1-line block ×3, first 2 shown]
	s_delay_alu instid0(VALU_DEP_3) | instskip(SKIP_1) | instid1(VALU_DEP_4)
	v_add_co_u32 v3, vcc_lo, v15, v3
	s_wait_alu 0xfffd
	v_add_co_ci_u32_e32 v4, vcc_lo, 0, v4, vcc_lo
	s_delay_alu instid0(VALU_DEP_2) | instskip(SKIP_1) | instid1(VALU_DEP_2)
	v_add_co_u32 v3, vcc_lo, v3, v11
	s_wait_alu 0xfffd
	v_add_co_ci_u32_e32 v3, vcc_lo, v4, v12, vcc_lo
	s_wait_alu 0xfffd
	v_add_co_ci_u32_e32 v4, vcc_lo, 0, v14, vcc_lo
	s_delay_alu instid0(VALU_DEP_2) | instskip(SKIP_1) | instid1(VALU_DEP_2)
	v_add_co_u32 v8, vcc_lo, v3, v13
	s_wait_alu 0xfffd
	v_add_co_ci_u32_e32 v11, vcc_lo, 0, v4, vcc_lo
	s_delay_alu instid0(VALU_DEP_2) | instskip(SKIP_1) | instid1(VALU_DEP_3)
	v_mul_lo_u32 v12, s29, v8
	v_mad_co_u64_u32 v[3:4], null, s28, v8, 0
	v_mul_lo_u32 v13, s28, v11
	s_delay_alu instid0(VALU_DEP_2) | instskip(NEXT) | instid1(VALU_DEP_2)
	v_sub_co_u32 v3, vcc_lo, v9, v3
	v_add3_u32 v4, v4, v13, v12
	s_delay_alu instid0(VALU_DEP_1) | instskip(SKIP_1) | instid1(VALU_DEP_1)
	v_sub_nc_u32_e32 v12, v10, v4
	s_wait_alu 0xfffd
	v_subrev_co_ci_u32_e64 v12, s2, s29, v12, vcc_lo
	v_add_co_u32 v13, s2, v8, 2
	s_wait_alu 0xf1ff
	v_add_co_ci_u32_e64 v14, s2, 0, v11, s2
	v_sub_co_u32 v15, s2, v3, s28
	v_sub_co_ci_u32_e32 v4, vcc_lo, v10, v4, vcc_lo
	s_wait_alu 0xf1ff
	v_subrev_co_ci_u32_e64 v12, s2, 0, v12, s2
	s_delay_alu instid0(VALU_DEP_3) | instskip(NEXT) | instid1(VALU_DEP_3)
	v_cmp_le_u32_e32 vcc_lo, s28, v15
	v_cmp_eq_u32_e64 s2, s29, v4
	s_wait_alu 0xfffd
	v_cndmask_b32_e64 v15, 0, -1, vcc_lo
	v_cmp_le_u32_e32 vcc_lo, s29, v12
	s_wait_alu 0xfffd
	v_cndmask_b32_e64 v16, 0, -1, vcc_lo
	v_cmp_le_u32_e32 vcc_lo, s28, v3
	;; [unrolled: 3-line block ×3, first 2 shown]
	s_wait_alu 0xfffd
	v_cndmask_b32_e64 v17, 0, -1, vcc_lo
	v_cmp_eq_u32_e32 vcc_lo, s29, v12
	s_wait_alu 0xf1ff
	s_delay_alu instid0(VALU_DEP_2)
	v_cndmask_b32_e64 v3, v17, v3, s2
	s_wait_alu 0xfffd
	v_cndmask_b32_e32 v12, v16, v15, vcc_lo
	v_add_co_u32 v15, vcc_lo, v8, 1
	s_wait_alu 0xfffd
	v_add_co_ci_u32_e32 v16, vcc_lo, 0, v11, vcc_lo
	s_delay_alu instid0(VALU_DEP_3) | instskip(SKIP_1) | instid1(VALU_DEP_2)
	v_cmp_ne_u32_e32 vcc_lo, 0, v12
	s_wait_alu 0xfffd
	v_cndmask_b32_e32 v4, v16, v14, vcc_lo
	v_cndmask_b32_e32 v12, v15, v13, vcc_lo
	v_cmp_ne_u32_e32 vcc_lo, 0, v3
	s_wait_alu 0xfffd
	s_delay_alu instid0(VALU_DEP_3) | instskip(NEXT) | instid1(VALU_DEP_3)
	v_cndmask_b32_e32 v4, v11, v4, vcc_lo
	v_cndmask_b32_e32 v3, v8, v12, vcc_lo
.LBB0_4:                                ;   in Loop: Header=BB0_2 Depth=1
	s_wait_alu 0xfffe
	s_and_not1_saveexec_b32 s2, s30
	s_cbranch_execz .LBB0_6
; %bb.5:                                ;   in Loop: Header=BB0_2 Depth=1
	v_cvt_f32_u32_e32 v3, s28
	s_sub_co_i32 s30, 0, s28
	s_delay_alu instid0(VALU_DEP_1) | instskip(NEXT) | instid1(TRANS32_DEP_1)
	v_rcp_iflag_f32_e32 v3, v3
	v_mul_f32_e32 v3, 0x4f7ffffe, v3
	s_delay_alu instid0(VALU_DEP_1) | instskip(SKIP_1) | instid1(VALU_DEP_1)
	v_cvt_u32_f32_e32 v3, v3
	s_wait_alu 0xfffe
	v_mul_lo_u32 v4, s30, v3
	s_delay_alu instid0(VALU_DEP_1) | instskip(NEXT) | instid1(VALU_DEP_1)
	v_mul_hi_u32 v4, v3, v4
	v_add_nc_u32_e32 v3, v3, v4
	s_delay_alu instid0(VALU_DEP_1) | instskip(NEXT) | instid1(VALU_DEP_1)
	v_mul_hi_u32 v3, v9, v3
	v_mul_lo_u32 v4, v3, s28
	v_add_nc_u32_e32 v8, 1, v3
	s_delay_alu instid0(VALU_DEP_2) | instskip(NEXT) | instid1(VALU_DEP_1)
	v_sub_nc_u32_e32 v4, v9, v4
	v_subrev_nc_u32_e32 v11, s28, v4
	v_cmp_le_u32_e32 vcc_lo, s28, v4
	s_wait_alu 0xfffd
	s_delay_alu instid0(VALU_DEP_2) | instskip(NEXT) | instid1(VALU_DEP_1)
	v_dual_cndmask_b32 v4, v4, v11 :: v_dual_cndmask_b32 v3, v3, v8
	v_cmp_le_u32_e32 vcc_lo, s28, v4
	s_delay_alu instid0(VALU_DEP_2) | instskip(SKIP_2) | instid1(VALU_DEP_2)
	v_add_nc_u32_e32 v8, 1, v3
	v_mov_b32_e32 v4, v7
	s_wait_alu 0xfffd
	v_cndmask_b32_e32 v3, v3, v8, vcc_lo
.LBB0_6:                                ;   in Loop: Header=BB0_2 Depth=1
	s_wait_alu 0xfffe
	s_or_b32 exec_lo, exec_lo, s2
	v_mul_lo_u32 v8, v4, s28
	s_delay_alu instid0(VALU_DEP_2)
	v_mul_lo_u32 v13, v3, s29
	s_load_b64 s[30:31], s[22:23], 0x0
	v_mad_co_u64_u32 v[11:12], null, v3, s28, 0
	s_load_b64 s[28:29], s[20:21], 0x0
	s_add_nc_u64 s[24:25], s[24:25], 1
	s_add_nc_u64 s[20:21], s[20:21], 8
	s_wait_alu 0xfffe
	v_cmp_ge_u64_e64 s2, s[24:25], s[10:11]
	s_add_nc_u64 s[22:23], s[22:23], 8
	s_add_nc_u64 s[26:27], s[26:27], 8
	v_add3_u32 v8, v12, v13, v8
	v_sub_co_u32 v9, vcc_lo, v9, v11
	s_wait_alu 0xfffd
	s_delay_alu instid0(VALU_DEP_2) | instskip(SKIP_2) | instid1(VALU_DEP_1)
	v_sub_co_ci_u32_e32 v8, vcc_lo, v10, v8, vcc_lo
	s_and_b32 vcc_lo, exec_lo, s2
	s_wait_kmcnt 0x0
	v_mul_lo_u32 v10, s30, v8
	v_mul_lo_u32 v11, s31, v9
	v_mad_co_u64_u32 v[5:6], null, s30, v9, v[5:6]
	v_mul_lo_u32 v8, s28, v8
	v_mul_lo_u32 v12, s29, v9
	v_mad_co_u64_u32 v[1:2], null, s28, v9, v[1:2]
	s_delay_alu instid0(VALU_DEP_4) | instskip(NEXT) | instid1(VALU_DEP_2)
	v_add3_u32 v6, v11, v6, v10
	v_add3_u32 v2, v12, v2, v8
	s_wait_alu 0xfffe
	s_cbranch_vccnz .LBB0_9
; %bb.7:                                ;   in Loop: Header=BB0_2 Depth=1
	v_dual_mov_b32 v10, v4 :: v_dual_mov_b32 v9, v3
	s_branch .LBB0_2
.LBB0_8:
	v_dual_mov_b32 v1, v5 :: v_dual_mov_b32 v2, v6
	s_delay_alu instid0(VALU_DEP_2)
	v_dual_mov_b32 v3, v9 :: v_dual_mov_b32 v4, v10
.LBB0_9:
	s_load_b64 s[0:1], s[0:1], 0x28
	v_mul_hi_u32 v9, 0x11bb4a5, v0
	s_lshl_b64 s[10:11], s[10:11], 3
                                        ; implicit-def: $sgpr2
                                        ; implicit-def: $vgpr8
                                        ; implicit-def: $vgpr7
                                        ; implicit-def: $vgpr11
	s_wait_kmcnt 0x0
	v_cmp_gt_u64_e32 vcc_lo, s[0:1], v[3:4]
	v_cmp_le_u64_e64 s0, s[0:1], v[3:4]
	s_delay_alu instid0(VALU_DEP_1)
	s_and_saveexec_b32 s1, s0
	s_wait_alu 0xfffe
	s_xor_b32 s0, exec_lo, s1
; %bb.10:
	v_mul_u32_u24_e32 v5, 0xe7, v9
	s_mov_b32 s2, 0
                                        ; implicit-def: $vgpr9
	s_delay_alu instid0(VALU_DEP_1) | instskip(NEXT) | instid1(VALU_DEP_1)
	v_sub_nc_u32_e32 v8, v0, v5
                                        ; implicit-def: $vgpr0
                                        ; implicit-def: $vgpr5_vgpr6
	v_add_nc_u32_e32 v7, 0xe7, v8
	v_add_nc_u32_e32 v11, 0x1ce, v8
; %bb.11:
	s_wait_alu 0xfffe
	s_or_saveexec_b32 s1, s0
	v_dual_mov_b32 v14, s2 :: v_dual_mov_b32 v21, s2
	v_mov_b32_e32 v15, s2
	s_add_nc_u64 s[2:3], s[14:15], s[10:11]
                                        ; implicit-def: $vgpr22
                                        ; implicit-def: $vgpr10
                                        ; implicit-def: $vgpr23
                                        ; implicit-def: $vgpr13
                                        ; implicit-def: $vgpr24
                                        ; implicit-def: $vgpr17
	s_wait_alu 0xfffe
	s_xor_b32 exec_lo, exec_lo, s1
	s_cbranch_execz .LBB0_13
; %bb.12:
	s_add_nc_u64 s[10:11], s[12:13], s[10:11]
	v_mul_u32_u24_e32 v7, 0xe7, v9
	s_load_b64 s[10:11], s[10:11], 0x0
	v_lshlrev_b64_e32 v[5:6], 2, v[5:6]
	s_delay_alu instid0(VALU_DEP_2) | instskip(NEXT) | instid1(VALU_DEP_1)
	v_sub_nc_u32_e32 v8, v0, v7
	v_mad_co_u64_u32 v[9:10], null, s18, v8, 0
	v_add_nc_u32_e32 v26, 0x2b5, v8
	v_add_nc_u32_e32 v7, 0xe7, v8
	s_delay_alu instid0(VALU_DEP_2) | instskip(NEXT) | instid1(VALU_DEP_4)
	v_mad_co_u64_u32 v[12:13], null, s18, v26, 0
	v_dual_mov_b32 v0, v10 :: v_dual_add_nc_u32 v27, 0x39c, v8
	s_wait_kmcnt 0x0
	v_mul_lo_u32 v24, s11, v3
	v_mul_lo_u32 v25, s10, v4
	v_mad_co_u64_u32 v[16:17], null, s10, v3, 0
	v_mad_co_u64_u32 v[14:15], null, s18, v7, 0
	s_delay_alu instid0(VALU_DEP_2)
	v_add3_u32 v17, v17, v25, v24
	v_mad_co_u64_u32 v[24:25], null, s19, v8, v[0:1]
	v_mov_b32_e32 v0, v13
	v_mad_co_u64_u32 v[18:19], null, s18, v27, 0
	v_add_nc_u32_e32 v11, 0x1ce, v8
	v_lshlrev_b64_e32 v[16:17], 2, v[16:17]
	s_delay_alu instid0(VALU_DEP_4) | instskip(NEXT) | instid1(VALU_DEP_4)
	v_mad_co_u64_u32 v[25:26], null, s19, v26, v[0:1]
	v_mov_b32_e32 v10, v19
	s_delay_alu instid0(VALU_DEP_4) | instskip(NEXT) | instid1(VALU_DEP_4)
	v_mad_co_u64_u32 v[20:21], null, s18, v11, 0
	v_add_co_u32 v0, s0, s4, v16
	s_delay_alu instid0(VALU_DEP_3)
	v_mad_co_u64_u32 v[26:27], null, s19, v27, v[10:11]
	v_mov_b32_e32 v10, v24
	v_add_nc_u32_e32 v28, 0x483, v8
	s_wait_alu 0xf1ff
	v_add_co_ci_u32_e64 v13, s0, s5, v17, s0
	v_add_co_u32 v24, s0, v0, v5
	v_mov_b32_e32 v19, v26
	v_lshlrev_b64_e32 v[9:10], 2, v[9:10]
	v_mad_co_u64_u32 v[22:23], null, s18, v28, 0
	s_wait_alu 0xf1ff
	v_add_co_ci_u32_e64 v27, s0, v13, v6, s0
	v_mov_b32_e32 v13, v25
	s_delay_alu instid0(VALU_DEP_4) | instskip(SKIP_1) | instid1(VALU_DEP_3)
	v_add_co_u32 v5, s0, v24, v9
	s_wait_alu 0xf1ff
	v_add_co_ci_u32_e64 v6, s0, v27, v10, s0
	s_delay_alu instid0(VALU_DEP_3) | instskip(SKIP_2) | instid1(VALU_DEP_3)
	v_lshlrev_b64_e32 v[9:10], 2, v[12:13]
	v_mad_co_u64_u32 v[12:13], null, s19, v7, v[15:16]
	v_dual_mov_b32 v0, v23 :: v_dual_mov_b32 v13, v21
	v_add_co_u32 v9, s0, v24, v9
	s_wait_alu 0xf1ff
	s_delay_alu instid0(VALU_DEP_4) | instskip(NEXT) | instid1(VALU_DEP_4)
	v_add_co_ci_u32_e64 v10, s0, v27, v10, s0
	v_mov_b32_e32 v15, v12
	v_mad_co_u64_u32 v[16:17], null, s19, v28, v[0:1]
	v_lshlrev_b64_e32 v[17:18], 2, v[18:19]
	v_mad_co_u64_u32 v[12:13], null, s19, v11, v[13:14]
	s_delay_alu instid0(VALU_DEP_4)
	v_lshlrev_b64_e32 v[13:14], 2, v[14:15]
	global_load_b32 v10, v[9:10], off
	v_mov_b32_e32 v23, v16
	v_add_co_u32 v15, s0, v24, v17
	s_wait_alu 0xf1ff
	v_add_co_ci_u32_e64 v16, s0, v27, v18, s0
	v_mov_b32_e32 v21, v12
	v_lshlrev_b64_e32 v[17:18], 2, v[22:23]
	v_add_co_u32 v22, s0, v24, v13
	global_load_b32 v13, v[15:16], off
	s_wait_alu 0xf1ff
	v_add_co_ci_u32_e64 v23, s0, v27, v14, s0
	v_lshlrev_b64_e32 v[14:15], 2, v[20:21]
	v_add_co_u32 v16, s0, v24, v17
	s_wait_alu 0xf1ff
	v_add_co_ci_u32_e64 v17, s0, v27, v18, s0
	s_delay_alu instid0(VALU_DEP_3)
	v_add_co_u32 v18, s0, v24, v14
	s_wait_alu 0xf1ff
	v_add_co_ci_u32_e64 v19, s0, v27, v15, s0
	s_clause 0x3
	global_load_b32 v17, v[16:17], off
	global_load_b32 v14, v[5:6], off
	;; [unrolled: 1-line block ×4, first 2 shown]
	s_wait_loadcnt 0x5
	v_lshrrev_b32_e32 v22, 16, v10
	s_wait_loadcnt 0x4
	v_lshrrev_b32_e32 v23, 16, v13
	;; [unrolled: 2-line block ×3, first 2 shown]
.LBB0_13:
	s_or_b32 exec_lo, exec_lo, s1
	s_wait_loadcnt 0x2
	v_sub_f16_e32 v12, v14, v10
	s_load_b64 s[2:3], s[2:3], 0x0
	s_wait_loadcnt 0x1
	v_sub_f16_e32 v16, v21, v13
	s_wait_loadcnt 0x0
	v_sub_f16_e32 v17, v15, v17
	v_lshl_add_u32 v0, v8, 2, 0
	v_fma_f16 v6, v14, 2.0, -v12
	v_lshlrev_b32_e32 v5, 1, v8
	v_fma_f16 v19, v21, 2.0, -v16
	v_fma_f16 v18, v15, 2.0, -v17
	v_lshl_add_u32 v10, v7, 2, 0
	v_pack_b32_f16 v13, v6, v12
	v_lshl_add_u32 v9, v11, 2, 0
	v_pack_b32_f16 v20, v19, v16
	v_pack_b32_f16 v25, v18, v17
	v_cmp_gt_u32_e64 s0, 0xc6, v8
	ds_store_b32 v0, v13
	ds_store_b32 v10, v20
	;; [unrolled: 1-line block ×3, first 2 shown]
	v_sub_nc_u32_e32 v13, v0, v5
	global_wb scope:SCOPE_SE
	s_wait_dscnt 0x0
	s_wait_kmcnt 0x0
	s_barrier_signal -1
	s_barrier_wait -1
	global_inv scope:SCOPE_SE
                                        ; implicit-def: $vgpr20
	s_and_saveexec_b32 s1, s0
	s_cbranch_execz .LBB0_15
; %bb.14:
	ds_load_u16 v6, v13
	ds_load_u16 v12, v13 offset:396
	ds_load_u16 v19, v13 offset:792
	;; [unrolled: 1-line block ×6, first 2 shown]
.LBB0_15:
	s_wait_alu 0xfffe
	s_or_b32 exec_lo, exec_lo, s1
	v_lshrrev_b32_e32 v14, 16, v14
	v_lshrrev_b32_e32 v21, 16, v21
	v_lshrrev_b32_e32 v26, 16, v15
	global_wb scope:SCOPE_SE
	s_wait_dscnt 0x0
	s_barrier_signal -1
	v_sub_f16_e32 v30, v14, v22
	v_sub_f16_e32 v27, v21, v23
	;; [unrolled: 1-line block ×3, first 2 shown]
	s_barrier_wait -1
	global_inv scope:SCOPE_SE
	v_fma_f16 v15, v14, 2.0, -v30
	v_fma_f16 v31, v21, 2.0, -v27
	;; [unrolled: 1-line block ×3, first 2 shown]
                                        ; implicit-def: $vgpr32
	s_delay_alu instid0(VALU_DEP_3) | instskip(NEXT) | instid1(VALU_DEP_3)
	v_pack_b32_f16 v14, v15, v30
	v_pack_b32_f16 v21, v31, v27
	s_delay_alu instid0(VALU_DEP_3)
	v_pack_b32_f16 v22, v29, v25
	ds_store_b32 v0, v14
	ds_store_b32 v10, v21
	;; [unrolled: 1-line block ×3, first 2 shown]
	global_wb scope:SCOPE_SE
	s_wait_dscnt 0x0
	s_barrier_signal -1
	s_barrier_wait -1
	global_inv scope:SCOPE_SE
	s_and_saveexec_b32 s1, s0
	s_cbranch_execz .LBB0_17
; %bb.16:
	ds_load_u16 v15, v13
	ds_load_u16 v30, v13 offset:396
	ds_load_u16 v31, v13 offset:792
	;; [unrolled: 1-line block ×6, first 2 shown]
.LBB0_17:
	s_wait_alu 0xfffe
	s_or_b32 exec_lo, exec_lo, s1
	v_and_b32_e32 v14, 1, v8
	s_delay_alu instid0(VALU_DEP_1) | instskip(NEXT) | instid1(VALU_DEP_1)
	v_mul_u32_u24_e32 v21, 6, v14
	v_lshlrev_b32_e32 v21, 2, v21
	s_clause 0x1
	global_load_b128 v[33:36], v21, s[8:9]
	global_load_b64 v[37:38], v21, s[8:9] offset:16
	global_wb scope:SCOPE_SE
	s_wait_loadcnt_dscnt 0x0
	s_barrier_signal -1
	s_barrier_wait -1
	global_inv scope:SCOPE_SE
	v_lshrrev_b32_e32 v21, 16, v33
	v_lshrrev_b32_e32 v24, 16, v34
	;; [unrolled: 1-line block ×6, first 2 shown]
	v_mul_f16_e32 v22, v30, v21
	v_mul_f16_e32 v41, v12, v21
	;; [unrolled: 1-line block ×11, first 2 shown]
	v_fmac_f16_e32 v22, v12, v33
	v_fmac_f16_e32 v23, v19, v34
	;; [unrolled: 1-line block ×4, first 2 shown]
	v_mul_f16_e32 v39, v17, v39
	v_fma_f16 v30, v30, v33, -v41
	v_fma_f16 v31, v31, v34, -v42
	v_fmac_f16_e32 v21, v16, v35
	v_fma_f16 v16, v27, v35, -v43
	v_fmac_f16_e32 v24, v18, v36
	v_fma_f16 v17, v29, v36, -v44
	v_fma_f16 v18, v32, v38, -v40
	v_add_f16_e32 v32, v22, v28
	v_add_f16_e32 v34, v23, v26
	v_fma_f16 v25, v25, v37, -v39
	v_add_f16_e32 v12, v21, v24
	v_sub_f16_e32 v36, v30, v18
	v_sub_f16_e32 v19, v17, v16
	v_add_f16_e32 v20, v34, v32
	v_sub_f16_e32 v37, v31, v25
	v_sub_f16_e32 v27, v32, v12
	;; [unrolled: 1-line block ×4, first 2 shown]
	v_add_f16_e32 v12, v12, v20
	v_add_f16_e32 v20, v19, v37
	v_sub_f16_e32 v39, v19, v37
	v_mul_f16_e32 v40, 0x3a52, v27
	v_mul_f16_e32 v41, 0xb574, v29
	v_add_f16_e32 v27, v6, v12
	v_add_f16_e32 v42, v20, v36
	v_lshlrev_b32_e32 v20, 1, v11
	v_fmamk_f16 v6, v38, 0x2b26, v40
	v_fmamk_f16 v29, v39, 0x3846, v41
	;; [unrolled: 1-line block ×3, first 2 shown]
	v_lshrrev_b32_e32 v19, 1, v8
	s_delay_alu instid0(VALU_DEP_3) | instskip(NEXT) | instid1(VALU_DEP_3)
	v_fmac_f16_e32 v29, 0xb70e, v42
	v_add_f16_e32 v35, v6, v33
	v_lshlrev_b32_e32 v6, 1, v7
	s_delay_alu instid0(VALU_DEP_2)
	v_sub_f16_e32 v12, v35, v29
	s_and_saveexec_b32 s1, s0
	s_cbranch_execz .LBB0_19
; %bb.18:
	v_sub_f16_e32 v11, v34, v32
	v_sub_f16_e32 v32, v37, v36
	v_mul_f16_e32 v34, 0x2b26, v38
	v_mul_f16_e32 v36, 0x3846, v39
	;; [unrolled: 1-line block ×3, first 2 shown]
	v_fma_f16 v38, v11, 0xb9e0, -v40
	v_mul_u32_u24_e32 v40, 14, v19
	v_fma_f16 v39, v32, 0x3b00, -v41
	v_fma_f16 v32, v32, 0xbb00, -v36
	;; [unrolled: 1-line block ×3, first 2 shown]
	v_add_f16_e32 v34, v38, v33
	v_or_b32_e32 v38, v40, v14
	v_add_f16_e32 v36, v37, v39
	v_add_f16_e32 v32, v37, v32
	;; [unrolled: 1-line block ×4, first 2 shown]
	v_lshl_add_u32 v37, v38, 1, 0
	v_sub_f16_e32 v33, v34, v36
	v_add_f16_e32 v34, v36, v34
	v_sub_f16_e32 v35, v11, v32
	v_add_f16_e32 v11, v32, v11
	ds_store_b16 v37, v27
	ds_store_b16 v37, v29 offset:4
	ds_store_b16 v37, v34 offset:8
	;; [unrolled: 1-line block ×6, first 2 shown]
.LBB0_19:
	s_wait_alu 0xfffe
	s_or_b32 exec_lo, exec_lo, s1
	v_add_f16_e32 v27, v30, v18
	v_add_f16_e32 v29, v31, v25
	;; [unrolled: 1-line block ×3, first 2 shown]
	v_sub_f16_e32 v25, v22, v28
	v_sub_f16_e32 v17, v24, v21
	;; [unrolled: 1-line block ×3, first 2 shown]
	v_add_f16_e32 v16, v29, v27
	v_sub_nc_u32_e32 v18, v9, v20
	v_sub_f16_e32 v21, v27, v11
	v_sub_f16_e32 v35, v11, v29
	v_add_f16_e32 v22, v17, v26
	v_add_f16_e32 v16, v11, v16
	v_sub_f16_e32 v11, v25, v17
	global_wb scope:SCOPE_SE
	s_wait_dscnt 0x0
	s_barrier_signal -1
	s_barrier_wait -1
	v_add_f16_e32 v15, v15, v16
	v_mul_f16_e32 v30, 0xb574, v11
	global_inv scope:SCOPE_SE
	ds_load_u16 v11, v18
	v_sub_nc_u32_e32 v18, v10, v6
	v_sub_f16_e32 v34, v17, v26
	v_add_f16_e32 v36, v22, v25
	v_mul_f16_e32 v33, 0x3a52, v21
	v_fmamk_f16 v28, v16, 0xbcab, v15
	ds_load_u16 v17, v13 offset:2310
	ds_load_u16 v22, v13 offset:1848
	;; [unrolled: 1-line block ×3, first 2 shown]
	ds_load_u16 v16, v13
	ds_load_u16 v13, v18
	v_fmamk_f16 v31, v34, 0x3846, v30
	v_sub_nc_u32_e32 v23, 0, v5
	v_fmamk_f16 v18, v35, 0x2b26, v33
	v_sub_nc_u32_e32 v20, 0, v20
	v_sub_nc_u32_e32 v24, 0, v6
	v_fmac_f16_e32 v31, 0xb70e, v36
	global_wb scope:SCOPE_SE
	s_wait_dscnt 0x0
	v_add_f16_e32 v32, v18, v28
	s_barrier_signal -1
	s_barrier_wait -1
	global_inv scope:SCOPE_SE
	v_add_f16_e32 v18, v31, v32
	s_and_saveexec_b32 s1, s0
	s_cbranch_execz .LBB0_21
; %bb.20:
	v_mul_f16_e32 v35, 0x2b26, v35
	v_sub_f16_e32 v27, v29, v27
	v_sub_f16_e32 v25, v26, v25
	v_mul_f16_e32 v26, 0x3846, v34
	v_mul_u32_u24_e32 v19, 14, v19
	v_mul_f16_e32 v29, 0xb70e, v36
	v_fma_f16 v34, v27, 0x39e0, -v35
	v_fma_f16 v27, v27, 0xb9e0, -v33
	v_fma_f16 v30, v25, 0x3b00, -v30
	v_fma_f16 v25, v25, 0xbb00, -v26
	v_or_b32_e32 v14, v19, v14
	v_add_f16_e32 v26, v34, v28
	v_add_f16_e32 v27, v27, v28
	;; [unrolled: 1-line block ×4, first 2 shown]
	v_lshl_add_u32 v14, v14, 1, 0
	v_sub_f16_e32 v28, v32, v31
	s_delay_alu instid0(VALU_DEP_4) | instskip(NEXT) | instid1(VALU_DEP_4)
	v_sub_f16_e32 v29, v27, v19
	v_add_f16_e32 v30, v25, v26
	v_sub_f16_e32 v25, v26, v25
	v_add_f16_e32 v19, v19, v27
	ds_store_b16 v14, v15
	ds_store_b16 v14, v28 offset:4
	ds_store_b16 v14, v29 offset:8
	;; [unrolled: 1-line block ×6, first 2 shown]
.LBB0_21:
	s_wait_alu 0xfffe
	s_or_b32 exec_lo, exec_lo, s1
	v_lshrrev_b16 v14, 1, v8
	v_lshrrev_b16 v19, 1, v7
	global_wb scope:SCOPE_SE
	s_wait_dscnt 0x0
	s_barrier_signal -1
	s_barrier_wait -1
	v_and_b32_e32 v15, 0x7f, v14
	v_and_b32_e32 v14, 0xffff, v19
	global_inv scope:SCOPE_SE
	v_add_nc_u32_e32 v0, v0, v23
	v_add_nc_u32_e32 v9, v9, v20
	v_mul_lo_u16 v19, 0x93, v15
	v_mul_u32_u24_e32 v14, 0x4925, v14
	v_add_nc_u32_e32 v10, v10, v24
	v_cmp_gt_u32_e64 s0, 0x7e, v8
	s_delay_alu instid0(VALU_DEP_4) | instskip(NEXT) | instid1(VALU_DEP_4)
	v_lshrrev_b16 v27, 10, v19
	v_lshrrev_b32_e32 v14, 17, v14
	s_delay_alu instid0(VALU_DEP_2) | instskip(NEXT) | instid1(VALU_DEP_2)
	v_mul_lo_u16 v19, v27, 14
	v_mul_lo_u16 v25, v14, 14
	v_and_b32_e32 v23, 0xffff, v27
	v_mul_u32_u24_e32 v14, 0x54, v14
	s_delay_alu instid0(VALU_DEP_4) | instskip(NEXT) | instid1(VALU_DEP_4)
	v_sub_nc_u16 v19, v8, v19
	v_sub_nc_u16 v7, v7, v25
	s_delay_alu instid0(VALU_DEP_4) | instskip(NEXT) | instid1(VALU_DEP_3)
	v_mul_u32_u24_e32 v23, 0x54, v23
	v_and_b32_e32 v28, 0xff, v19
	s_delay_alu instid0(VALU_DEP_3) | instskip(NEXT) | instid1(VALU_DEP_2)
	v_and_b32_e32 v7, 0xffff, v7
	v_lshlrev_b32_e32 v19, 3, v28
	s_delay_alu instid0(VALU_DEP_2)
	v_lshlrev_b32_e32 v29, 3, v7
	v_lshlrev_b32_e32 v24, 1, v28
	;; [unrolled: 1-line block ×3, first 2 shown]
	s_clause 0x1
	global_load_b64 v[25:26], v19, s[8:9] offset:48
	global_load_b64 v[30:31], v29, s[8:9] offset:48
	ds_load_u16 v20, v0
	ds_load_u16 v32, v0 offset:1848
	ds_load_u16 v33, v9
	ds_load_u16 v19, v10
	ds_load_u16 v35, v0 offset:2310
	ds_load_u16 v36, v0 offset:1386
	v_add3_u32 v23, 0, v23, v24
	v_add3_u32 v7, 0, v14, v7
	global_wb scope:SCOPE_SE
	s_wait_loadcnt_dscnt 0x0
	s_barrier_signal -1
	s_barrier_wait -1
	global_inv scope:SCOPE_SE
	v_lshrrev_b32_e32 v24, 16, v25
	v_lshrrev_b32_e32 v14, 16, v26
	;; [unrolled: 1-line block ×4, first 2 shown]
	s_delay_alu instid0(VALU_DEP_4)
	v_mul_f16_e32 v27, v33, v24
	v_mul_f16_e32 v37, v11, v24
	;; [unrolled: 1-line block ×8, first 2 shown]
	v_fmac_f16_e32 v27, v11, v25
	v_fmac_f16_e32 v29, v22, v26
	;; [unrolled: 1-line block ×4, first 2 shown]
	v_fma_f16 v34, v33, v25, -v37
	v_fma_f16 v11, v32, v26, -v14
	;; [unrolled: 1-line block ×4, first 2 shown]
	v_add_f16_e32 v14, v27, v29
	v_add_f16_e32 v22, v24, v28
	;; [unrolled: 1-line block ×3, first 2 shown]
	v_sub_f16_e32 v26, v34, v11
	v_add_f16_e32 v25, v13, v24
	v_fmac_f16_e32 v16, -0.5, v14
	v_sub_f16_e32 v30, v33, v17
	v_fmac_f16_e32 v13, -0.5, v22
	v_add_f16_e32 v14, v21, v29
	v_add_f16_e32 v21, v25, v28
	v_fmamk_f16 v25, v26, 0xbaee, v16
	v_fmac_f16_e32 v16, 0x3aee, v26
	v_fmamk_f16 v22, v30, 0xbaee, v13
	v_fmac_f16_e32 v13, 0x3aee, v30
	ds_store_b16 v23, v14
	ds_store_b16 v23, v25 offset:28
	ds_store_b16 v23, v16 offset:56
	ds_store_b16 v7, v21
	ds_store_b16 v7, v22 offset:28
	ds_store_b16 v7, v13 offset:56
	global_wb scope:SCOPE_SE
	s_wait_dscnt 0x0
	s_barrier_signal -1
	s_barrier_wait -1
	global_inv scope:SCOPE_SE
                                        ; implicit-def: $vgpr31
                                        ; implicit-def: $vgpr32
                                        ; implicit-def: $vgpr30
                                        ; implicit-def: $vgpr26
	s_and_saveexec_b32 s1, s0
	s_cbranch_execz .LBB0_23
; %bb.22:
	ds_load_u16 v14, v0
	ds_load_u16 v25, v0 offset:252
	ds_load_u16 v16, v0 offset:504
	;; [unrolled: 1-line block ×10, first 2 shown]
.LBB0_23:
	s_wait_alu 0xfffe
	s_or_b32 exec_lo, exec_lo, s1
	v_add_f16_e32 v35, v34, v11
	v_add_f16_e32 v36, v33, v17
	;; [unrolled: 1-line block ×3, first 2 shown]
	v_sub_f16_e32 v27, v27, v29
	v_add_f16_e32 v29, v19, v33
	v_fmac_f16_e32 v20, -0.5, v35
	v_sub_f16_e32 v24, v24, v28
	v_fmac_f16_e32 v19, -0.5, v36
	v_add_f16_e32 v11, v34, v11
	v_add_f16_e32 v29, v29, v17
	v_fmamk_f16 v35, v27, 0x3aee, v20
	v_fmac_f16_e32 v20, 0xbaee, v27
	v_fmamk_f16 v39, v24, 0x3aee, v19
	v_fmac_f16_e32 v19, 0xbaee, v24
	global_wb scope:SCOPE_SE
	s_wait_dscnt 0x0
	s_barrier_signal -1
	s_barrier_wait -1
	global_inv scope:SCOPE_SE
	ds_store_b16 v23, v11
	ds_store_b16 v23, v35 offset:28
	ds_store_b16 v23, v20 offset:56
	ds_store_b16 v7, v29
	ds_store_b16 v7, v39 offset:28
	ds_store_b16 v7, v19 offset:56
	global_wb scope:SCOPE_SE
	s_wait_dscnt 0x0
	s_barrier_signal -1
	s_barrier_wait -1
	global_inv scope:SCOPE_SE
                                        ; implicit-def: $vgpr40
                                        ; implicit-def: $vgpr41
                                        ; implicit-def: $vgpr42
                                        ; implicit-def: $vgpr43
	s_and_saveexec_b32 s1, s0
	s_cbranch_execz .LBB0_25
; %bb.24:
	ds_load_u16 v11, v0
	ds_load_u16 v35, v0 offset:252
	ds_load_u16 v20, v0 offset:504
	;; [unrolled: 1-line block ×10, first 2 shown]
.LBB0_25:
	s_wait_alu 0xfffe
	s_or_b32 exec_lo, exec_lo, s1
	v_mul_lo_u16 v7, v15, 49
	s_delay_alu instid0(VALU_DEP_1) | instskip(NEXT) | instid1(VALU_DEP_1)
	v_lshrrev_b16 v7, 10, v7
	v_mul_lo_u16 v15, v7, 42
	v_and_b32_e32 v7, 0xffff, v7
	s_delay_alu instid0(VALU_DEP_2) | instskip(NEXT) | instid1(VALU_DEP_1)
	v_sub_nc_u16 v15, v8, v15
	v_and_b32_e32 v54, 0xff, v15
	s_delay_alu instid0(VALU_DEP_1) | instskip(NEXT) | instid1(VALU_DEP_1)
	v_mul_u32_u24_e32 v15, 10, v54
	v_lshlrev_b32_e32 v15, 2, v15
	s_clause 0x2
	global_load_b128 v[44:47], v15, s[8:9] offset:160
	global_load_b128 v[48:51], v15, s[8:9] offset:176
	global_load_b64 v[52:53], v15, s[8:9] offset:192
	global_wb scope:SCOPE_SE
	s_wait_loadcnt_dscnt 0x0
	s_barrier_signal -1
	s_barrier_wait -1
	global_inv scope:SCOPE_SE
	v_lshrrev_b32_e32 v15, 16, v44
	v_lshrrev_b32_e32 v17, 16, v45
	;; [unrolled: 1-line block ×10, first 2 shown]
	v_mul_f16_e32 v36, v35, v15
	v_mul_f16_e32 v57, v25, v15
	;; [unrolled: 1-line block ×20, first 2 shown]
	v_fmac_f16_e32 v36, v25, v44
	v_fma_f16 v38, v35, v44, -v57
	v_fmac_f16_e32 v33, v16, v45
	v_fma_f16 v35, v20, v45, -v58
	;; [unrolled: 2-line block ×10, first 2 shown]
	v_lshlrev_b32_e32 v13, 1, v54
	s_and_saveexec_b32 s1, s0
	s_cbranch_execz .LBB0_27
; %bb.26:
	s_delay_alu instid0(VALU_DEP_2)
	v_sub_f16_e32 v18, v38, v31
	v_add_f16_e32 v16, v36, v37
	v_sub_f16_e32 v20, v35, v32
	v_add_f16_e32 v19, v33, v34
	v_sub_f16_e32 v40, v29, v30
	v_mul_f16_e32 v45, 0xb482, v18
	v_add_f16_e32 v39, v27, v28
	v_mul_f16_e32 v46, 0x3853, v20
	v_sub_f16_e32 v42, v25, v26
	v_mul_f16_e32 v47, 0xba0c, v40
	v_fma_f16 v50, v16, 0xbbad, -v45
	v_add_f16_e32 v41, v23, v24
	v_fma_f16 v53, v19, 0x3abb, -v46
	v_sub_f16_e32 v44, v21, v22
	v_mul_f16_e32 v48, 0x3b47, v42
	v_add_f16_e32 v50, v14, v50
	v_fma_f16 v54, v39, 0xb93d, -v47
	v_fmac_f16_e32 v45, 0xbbad, v16
	v_add_f16_e32 v43, v15, v17
	v_mul_f16_e32 v49, 0xbbeb, v44
	v_add_f16_e32 v50, v53, v50
	v_mul_f16_e32 v51, 0xba0c, v18
	v_fma_f16 v55, v41, 0x36a6, -v48
	v_fmac_f16_e32 v46, 0x3abb, v19
	v_add_f16_e32 v45, v14, v45
	v_add_f16_e32 v50, v54, v50
	v_mul_f16_e32 v52, 0x3beb, v20
	v_fma_f16 v53, v43, 0xb08e, -v49
	v_fmac_f16_e32 v47, 0xb93d, v39
	v_fma_f16 v54, v16, 0xb93d, -v51
	v_add_f16_e32 v45, v46, v45
	v_add_f16_e32 v46, v55, v50
	v_fmac_f16_e32 v48, 0x36a6, v41
	v_fmac_f16_e32 v49, 0xb08e, v43
	v_add_f16_e32 v50, v14, v54
	v_add_f16_e32 v45, v47, v45
	;; [unrolled: 1-line block ×3, first 2 shown]
	v_fma_f16 v47, v19, 0xb08e, -v52
	v_mul_f16_e32 v53, 0xb853, v40
	v_fmac_f16_e32 v51, 0xb93d, v16
	v_add_f16_e32 v45, v48, v45
	v_fmac_f16_e32 v52, 0xb08e, v19
	v_add_f16_e32 v47, v47, v50
	v_fma_f16 v48, v39, 0x3abb, -v53
	v_mul_f16_e32 v50, 0xb482, v42
	v_add_f16_e32 v45, v49, v45
	v_add_f16_e32 v49, v14, v51
	v_mul_f16_e32 v51, 0xbbeb, v18
	v_add_f16_e32 v47, v48, v47
	v_fma_f16 v48, v41, 0xbbad, -v50
	v_fmac_f16_e32 v53, 0x3abb, v39
	v_add_f16_e32 v49, v52, v49
	v_mul_f16_e32 v52, 0x3482, v20
	v_add_f16_e32 v12, v14, v36
	v_add_f16_e32 v47, v48, v47
	v_fma_f16 v48, v16, 0xb08e, -v51
	v_fmac_f16_e32 v51, 0xb08e, v16
	v_mul_f16_e32 v54, 0x3b47, v44
	v_add_f16_e32 v49, v53, v49
	v_fmac_f16_e32 v50, 0xbbad, v41
	v_add_f16_e32 v48, v14, v48
	v_fma_f16 v53, v19, 0xbbad, -v52
	v_mul_f16_e32 v56, 0x3b47, v40
	v_add_f16_e32 v51, v14, v51
	v_fmac_f16_e32 v52, 0xbbad, v19
	v_add_f16_e32 v12, v12, v33
	v_fma_f16 v55, v43, 0x36a6, -v54
	v_add_f16_e32 v49, v50, v49
	v_add_f16_e32 v48, v53, v48
	v_fma_f16 v50, v39, 0x36a6, -v56
	v_mul_f16_e32 v53, 0xb853, v42
	v_fmac_f16_e32 v54, 0x36a6, v43
	v_add_f16_e32 v51, v52, v51
	v_fmac_f16_e32 v56, 0x36a6, v39
	v_add_f16_e32 v12, v12, v27
	v_add_f16_e32 v47, v55, v47
	;; [unrolled: 1-line block ×3, first 2 shown]
	v_fma_f16 v50, v41, 0x3abb, -v53
	v_mul_f16_e32 v55, 0xbb47, v18
	v_add_f16_e32 v49, v54, v49
	v_mul_f16_e32 v54, 0xba0c, v44
	v_add_f16_e32 v51, v56, v51
	v_fmac_f16_e32 v53, 0x3abb, v41
	v_add_f16_e32 v12, v12, v23
	v_add_f16_e32 v48, v50, v48
	v_fma_f16 v50, v16, 0x36a6, -v55
	v_mul_f16_e32 v52, 0xba0c, v20
	v_fma_f16 v58, v43, 0xb93d, -v54
	v_add_f16_e32 v51, v53, v51
	v_fmac_f16_e32 v54, 0xb93d, v43
	v_fmac_f16_e32 v55, 0x36a6, v16
	v_mul_f16_e32 v18, 0xb853, v18
	v_add_f16_e32 v12, v12, v15
	v_fma_f16 v56, v19, 0xb93d, -v52
	v_add_f16_e32 v48, v58, v48
	v_add_f16_e32 v51, v54, v51
	;; [unrolled: 1-line block ×3, first 2 shown]
	v_fmac_f16_e32 v52, 0xb93d, v19
	v_mul_f16_e32 v20, 0xbb47, v20
	v_fma_f16 v58, v16, 0x3abb, -v18
	v_fmac_f16_e32 v18, 0x3abb, v16
	v_add_f16_e32 v12, v12, v17
	v_add_f16_e32 v50, v14, v50
	v_mul_f16_e32 v57, 0x3482, v40
	v_add_f16_e32 v16, v52, v54
	v_fma_f16 v52, v19, 0x36a6, -v20
	v_mul_f16_e32 v40, 0xbbeb, v40
	v_add_f16_e32 v18, v14, v18
	v_fmac_f16_e32 v20, 0x36a6, v19
	v_add_f16_e32 v12, v12, v24
	v_add_f16_e32 v14, v14, v58
	v_add_f16_e32 v50, v56, v50
	v_mul_f16_e32 v56, 0x3beb, v42
	v_fma_f16 v19, v39, 0xb08e, -v40
	v_mul_f16_e32 v42, 0xba0c, v42
	v_add_f16_e32 v18, v20, v18
	v_fmac_f16_e32 v40, 0xb08e, v39
	v_fma_f16 v53, v39, 0xbbad, -v57
	v_fmac_f16_e32 v57, 0xbbad, v39
	v_add_f16_e32 v12, v12, v28
	v_add_f16_e32 v14, v52, v14
	v_fma_f16 v20, v41, 0xb93d, -v42
	v_mul_f16_e32 v39, 0xb482, v44
	v_add_f16_e32 v18, v40, v18
	v_fmac_f16_e32 v42, 0xb93d, v41
	v_add_f16_e32 v50, v53, v50
	v_fma_f16 v53, v41, 0xb08e, -v56
	v_mul_f16_e32 v55, 0x3853, v44
	v_add_f16_e32 v16, v57, v16
	v_fmac_f16_e32 v56, 0xb08e, v41
	v_add_f16_e32 v12, v12, v34
	v_add_f16_e32 v14, v19, v14
	v_mul_u32_u24_e32 v41, 0x39c, v7
	v_fma_f16 v19, v43, 0xbbad, -v39
	v_add_f16_e32 v18, v42, v18
	v_fmac_f16_e32 v39, 0xbbad, v43
	v_fma_f16 v40, v43, 0x3abb, -v55
	v_add_f16_e32 v16, v56, v16
	v_fmac_f16_e32 v55, 0x3abb, v43
	v_add_f16_e32 v12, v12, v37
	v_add_f16_e32 v42, v53, v50
	;; [unrolled: 1-line block ×3, first 2 shown]
	v_add3_u32 v20, 0, v41, v13
	v_add_f16_e32 v18, v39, v18
	v_add_f16_e32 v16, v55, v16
	;; [unrolled: 1-line block ×4, first 2 shown]
	ds_store_b16 v20, v12
	ds_store_b16 v20, v18 offset:84
	ds_store_b16 v20, v16 offset:168
	;; [unrolled: 1-line block ×10, first 2 shown]
.LBB0_27:
	s_wait_alu 0xfffe
	s_or_b32 exec_lo, exec_lo, s1
	global_wb scope:SCOPE_SE
	s_wait_dscnt 0x0
	s_barrier_signal -1
	s_barrier_wait -1
	global_inv scope:SCOPE_SE
	ds_load_u16 v12, v0
	ds_load_u16 v14, v10
	;; [unrolled: 1-line block ×3, first 2 shown]
	ds_load_u16 v19, v0 offset:2310
	ds_load_u16 v18, v0 offset:1848
	;; [unrolled: 1-line block ×3, first 2 shown]
	global_wb scope:SCOPE_SE
	s_wait_dscnt 0x0
	s_barrier_signal -1
	s_barrier_wait -1
	global_inv scope:SCOPE_SE
	s_and_saveexec_b32 s1, s0
	s_cbranch_execz .LBB0_29
; %bb.28:
	v_add_f16_e32 v39, v11, v38
	v_sub_f16_e32 v33, v33, v34
	v_add_f16_e32 v38, v38, v31
	v_sub_f16_e32 v36, v36, v37
	v_add_f16_e32 v37, v35, v32
	v_add_f16_e32 v34, v39, v35
	v_sub_f16_e32 v27, v27, v28
	v_mul_f16_e32 v35, 0x3abb, v38
	v_mul_f16_e32 v39, 0x36a6, v38
	;; [unrolled: 1-line block ×3, first 2 shown]
	v_add_f16_e32 v34, v34, v29
	v_mul_f16_e32 v41, 0xb93d, v38
	v_mul_f16_e32 v38, 0xbbad, v38
	;; [unrolled: 1-line block ×3, first 2 shown]
	v_fmamk_f16 v45, v36, 0x3853, v35
	v_add_f16_e32 v34, v34, v25
	v_fmac_f16_e32 v35, 0xb853, v36
	v_mul_f16_e32 v43, 0xb93d, v37
	v_fmamk_f16 v46, v36, 0x3b47, v39
	v_fmac_f16_e32 v39, 0xbb47, v36
	v_add_f16_e32 v34, v34, v21
	v_fmamk_f16 v47, v36, 0x3beb, v40
	v_fmac_f16_e32 v40, 0xbbeb, v36
	v_fmamk_f16 v48, v36, 0x3a0c, v41
	v_fmac_f16_e32 v41, 0xba0c, v36
	v_add_f16_e32 v34, v34, v22
	v_fmamk_f16 v49, v36, 0x3482, v38
	v_fmac_f16_e32 v38, 0xb482, v36
	v_fmamk_f16 v36, v33, 0x3b47, v42
	v_fmac_f16_e32 v42, 0xbb47, v33
	v_add_f16_e32 v34, v34, v26
	v_add_f16_e32 v35, v11, v35
	v_mul_f16_e32 v44, 0xbbad, v37
	v_fmamk_f16 v50, v33, 0x3a0c, v43
	v_add_f16_e32 v39, v11, v39
	v_add_f16_e32 v34, v34, v30
	v_fmac_f16_e32 v43, 0xba0c, v33
	v_add_f16_e32 v29, v29, v30
	v_add_f16_e32 v45, v11, v45
	;; [unrolled: 1-line block ×7, first 2 shown]
	v_mul_f16_e32 v28, 0xb08e, v29
	v_add_f16_e32 v31, v32, v31
	v_add_f16_e32 v32, v42, v35
	v_mul_f16_e32 v42, 0xb08e, v37
	v_mul_f16_e32 v37, 0x3abb, v37
	v_add_f16_e32 v47, v11, v47
	v_add_f16_e32 v40, v11, v40
	;; [unrolled: 1-line block ×3, first 2 shown]
	v_fmamk_f16 v30, v33, 0xbbeb, v42
	v_fmac_f16_e32 v42, 0x3beb, v33
	v_fmamk_f16 v43, v33, 0xb853, v37
	v_add_f16_e32 v11, v11, v38
	v_add_f16_e32 v36, v36, v45
	v_fmamk_f16 v35, v33, 0xb482, v44
	v_fmac_f16_e32 v44, 0x3482, v33
	v_fmac_f16_e32 v37, 0x3853, v33
	v_add_f16_e32 v33, v42, v34
	v_add_f16_e32 v34, v43, v41
	v_fmamk_f16 v41, v27, 0x3beb, v28
	v_mul_f16_e32 v42, 0xbbad, v29
	v_add_f16_e32 v38, v50, v46
	v_add_f16_e32 v11, v37, v11
	v_fmac_f16_e32 v28, 0xbbeb, v27
	v_mul_f16_e32 v37, 0x36a6, v29
	v_add_f16_e32 v36, v41, v36
	v_fmamk_f16 v41, v27, 0xb482, v42
	v_add_f16_e32 v35, v35, v47
	v_add_f16_e32 v40, v44, v40
	v_add_f16_e32 v28, v28, v32
	v_fmamk_f16 v32, v27, 0xbb47, v37
	v_fmac_f16_e32 v37, 0x3b47, v27
	v_add_f16_e32 v38, v41, v38
	v_mul_f16_e32 v41, 0x3abb, v29
	v_add_f16_e32 v25, v25, v26
	v_mul_f16_e32 v26, 0xb93d, v29
	v_add_f16_e32 v30, v30, v48
	v_add_f16_e32 v32, v32, v35
	;; [unrolled: 1-line block ×3, first 2 shown]
	v_fmamk_f16 v29, v27, 0x3853, v41
	v_fmac_f16_e32 v41, 0xb853, v27
	v_sub_f16_e32 v23, v23, v24
	v_mul_f16_e32 v24, 0xb93d, v25
	v_fmamk_f16 v37, v27, 0x3a0c, v26
	v_fmac_f16_e32 v42, 0x3482, v27
	v_add_f16_e32 v29, v29, v30
	v_add_f16_e32 v30, v41, v33
	v_fmac_f16_e32 v26, 0xba0c, v27
	v_fmamk_f16 v27, v23, 0x3a0c, v24
	v_add_f16_e32 v33, v37, v34
	v_mul_f16_e32 v34, 0xb08e, v25
	v_fmac_f16_e32 v24, 0xba0c, v23
	v_add_f16_e32 v11, v26, v11
	v_add_f16_e32 v26, v27, v36
	v_mul_f16_e32 v27, 0x3abb, v25
	v_fmamk_f16 v36, v23, 0xbbeb, v34
	v_add_f16_e32 v24, v24, v28
	v_mul_f16_e32 v28, 0xbbad, v25
	v_mul_f16_e32 v25, 0x36a6, v25
	v_add_f16_e32 v21, v21, v22
	v_add_f16_e32 v36, v36, v38
	v_fmac_f16_e32 v34, 0x3beb, v23
	v_fmamk_f16 v38, v23, 0x3482, v28
	v_fmac_f16_e32 v28, 0xb482, v23
	v_fmamk_f16 v37, v23, 0x3853, v27
	v_fmac_f16_e32 v27, 0xb853, v23
	v_sub_f16_e32 v15, v15, v17
	v_add_f16_e32 v22, v38, v29
	v_fmamk_f16 v29, v23, 0xbb47, v25
	v_mul_f16_e32 v17, 0xbbad, v21
	v_fmac_f16_e32 v25, 0x3b47, v23
	v_add_f16_e32 v23, v28, v30
	v_add_f16_e32 v27, v27, v35
	;; [unrolled: 1-line block ×3, first 2 shown]
	v_mul_f16_e32 v29, 0x3abb, v21
	v_fmamk_f16 v30, v15, 0x3482, v17
	v_add_f16_e32 v11, v25, v11
	v_fmac_f16_e32 v17, 0xb482, v15
	v_mul_f16_e32 v25, 0xb93d, v21
	v_fmamk_f16 v33, v15, 0xb853, v29
	v_add_f16_e32 v26, v30, v26
	v_add_f16_e32 v39, v42, v39
	v_add_f16_e32 v17, v17, v24
	v_fmamk_f16 v24, v15, 0x3a0c, v25
	v_add_f16_e32 v30, v33, v36
	v_fmac_f16_e32 v25, 0xba0c, v15
	v_mul_f16_e32 v33, 0x36a6, v21
	v_add_f16_e32 v32, v37, v32
	v_mul_f16_e32 v21, 0xb08e, v21
	v_mul_u32_u24_e32 v7, 0x39c, v7
	v_add_f16_e32 v25, v25, v27
	v_fmamk_f16 v27, v15, 0xbb47, v33
	v_add_f16_e32 v34, v34, v39
	v_fmac_f16_e32 v29, 0x3853, v15
	v_add_f16_e32 v24, v24, v32
	v_fmac_f16_e32 v33, 0x3b47, v15
	v_fmamk_f16 v32, v15, 0x3beb, v21
	v_fmac_f16_e32 v21, 0xbbeb, v15
	v_add3_u32 v7, 0, v7, v13
	v_add_f16_e32 v13, v27, v22
	v_add_f16_e32 v29, v29, v34
	;; [unrolled: 1-line block ×5, first 2 shown]
	ds_store_b16 v7, v31
	ds_store_b16 v7, v26 offset:84
	ds_store_b16 v7, v30 offset:168
	;; [unrolled: 1-line block ×10, first 2 shown]
.LBB0_29:
	s_wait_alu 0xfffe
	s_or_b32 exec_lo, exec_lo, s1
	global_wb scope:SCOPE_SE
	s_wait_dscnt 0x0
	s_barrier_signal -1
	s_barrier_wait -1
	global_inv scope:SCOPE_SE
	s_and_saveexec_b32 s0, vcc_lo
	s_cbranch_execz .LBB0_31
; %bb.30:
	v_mov_b32_e32 v7, 0
	v_lshrrev_b32_e32 v13, 1, v8
	v_mul_lo_u32 v11, s2, v4
	v_add_nc_u32_e32 v15, 0xe7, v8
	s_delay_alu instid0(VALU_DEP_4) | instskip(SKIP_4) | instid1(VALU_DEP_4)
	v_lshlrev_b64_e32 v[21:22], 2, v[6:7]
	v_mov_b32_e32 v6, v7
	v_mul_lo_u32 v7, s3, v3
	v_mad_co_u64_u32 v[3:4], null, s2, v3, 0
	v_mul_hi_u32 v13, 0x8dda5203, v13
	v_lshlrev_b64_e32 v[5:6], 2, v[5:6]
	v_add_co_u32 v21, vcc_lo, s8, v21
	s_wait_alu 0xfffd
	v_add_co_ci_u32_e32 v22, vcc_lo, s9, v22, vcc_lo
	v_lshrrev_b32_e32 v17, 1, v15
	s_delay_alu instid0(VALU_DEP_4)
	v_add_co_u32 v5, vcc_lo, s8, v5
	s_wait_alu 0xfffd
	v_add_co_ci_u32_e32 v6, vcc_lo, s9, v6, vcc_lo
	global_load_b64 v[21:22], v[21:22], off offset:1840
	v_add3_u32 v4, v4, v11, v7
	v_mul_hi_u32 v7, 0x8dda5203, v17
	global_load_b64 v[5:6], v[5:6], off offset:1840
	v_lshrrev_b32_e32 v11, 7, v13
	ds_load_u16 v13, v10
	ds_load_u16 v17, v9
	ds_load_u16 v31, v0 offset:2310
	ds_load_u16 v32, v0 offset:1848
	v_lshlrev_b64_e32 v[3:4], 2, v[3:4]
	ds_load_u16 v33, v0 offset:1386
	ds_load_u16 v34, v0
	v_lshlrev_b64_e32 v[0:1], 2, v[1:2]
	v_mul_u32_u24_e32 v9, 0x1ce, v11
	v_lshrrev_b32_e32 v7, 7, v7
	s_delay_alu instid0(VALU_DEP_2) | instskip(NEXT) | instid1(VALU_DEP_2)
	v_sub_nc_u32_e32 v11, v8, v9
	v_mul_u32_u24_e32 v8, 0x1ce, v7
	v_add_co_u32 v9, vcc_lo, s6, v3
	s_wait_alu 0xfffd
	v_add_co_ci_u32_e32 v4, vcc_lo, s7, v4, vcc_lo
	s_delay_alu instid0(VALU_DEP_3) | instskip(SKIP_2) | instid1(VALU_DEP_3)
	v_sub_nc_u32_e32 v8, v15, v8
	v_mad_co_u64_u32 v[2:3], null, s16, v11, 0
	v_add_co_u32 v15, vcc_lo, v9, v0
	v_mad_u32_u24 v30, 0x56a, v7, v8
	s_wait_alu 0xfffd
	v_add_co_ci_u32_e32 v35, vcc_lo, v4, v1, vcc_lo
	s_delay_alu instid0(VALU_DEP_4) | instskip(NEXT) | instid1(VALU_DEP_3)
	v_mad_co_u64_u32 v[3:4], null, s17, v11, v[3:4]
	v_add_nc_u32_e32 v36, 0x1ce, v30
	v_mad_co_u64_u32 v[9:10], null, s16, v30, 0
	s_delay_alu instid0(VALU_DEP_2) | instskip(SKIP_1) | instid1(VALU_DEP_1)
	v_mad_co_u64_u32 v[23:24], null, s16, v36, 0
	v_add_nc_u32_e32 v29, 0x39c, v11
	v_mad_co_u64_u32 v[7:8], null, s16, v29, 0
	s_delay_alu instid0(VALU_DEP_1) | instskip(NEXT) | instid1(VALU_DEP_1)
	v_dual_mov_b32 v4, v8 :: v_dual_add_nc_u32 v27, 0x1ce, v11
	v_mad_co_u64_u32 v[0:1], null, s16, v27, 0
	s_delay_alu instid0(VALU_DEP_1) | instskip(SKIP_4) | instid1(VALU_DEP_3)
	v_mad_co_u64_u32 v[27:28], null, s17, v27, v[1:2]
	v_mov_b32_e32 v1, v10
	s_wait_loadcnt 0x0
	v_mad_co_u64_u32 v[10:11], null, s17, v29, v[4:5]
	v_dual_mov_b32 v4, v24 :: v_dual_add_nc_u32 v37, 0x39c, v30
	v_mad_co_u64_u32 v[28:29], null, s17, v30, v[1:2]
	v_mov_b32_e32 v1, v27
	v_lshlrev_b64_e32 v[2:3], 2, v[2:3]
	v_mov_b32_e32 v8, v10
	v_mad_co_u64_u32 v[25:26], null, s16, v37, 0
	v_mov_b32_e32 v10, v28
	s_delay_alu instid0(VALU_DEP_3)
	v_lshlrev_b64_e32 v[7:8], 2, v[7:8]
	v_add_co_u32 v2, vcc_lo, v15, v2
	s_wait_alu 0xfffd
	v_add_co_ci_u32_e32 v3, vcc_lo, v35, v3, vcc_lo
	v_mov_b32_e32 v11, v26
	v_mad_co_u64_u32 v[26:27], null, s17, v36, v[4:5]
	v_lshlrev_b64_e32 v[9:10], 2, v[9:10]
	v_lshrrev_b32_e32 v4, 16, v21
	v_lshrrev_b32_e32 v28, 16, v5
	s_delay_alu instid0(VALU_DEP_4) | instskip(SKIP_2) | instid1(VALU_DEP_3)
	v_mov_b32_e32 v24, v26
	v_mad_co_u64_u32 v[29:30], null, s17, v37, v[11:12]
	v_lshrrev_b32_e32 v11, 16, v22
	v_lshlrev_b64_e32 v[23:24], 2, v[23:24]
	s_delay_alu instid0(VALU_DEP_2) | instskip(NEXT) | instid1(VALU_DEP_4)
	v_mul_f16_e32 v27, v19, v11
	v_mov_b32_e32 v26, v29
	v_lshlrev_b64_e32 v[0:1], 2, v[0:1]
	s_wait_dscnt 0x3
	v_mul_f16_e32 v11, v31, v11
	v_lshrrev_b32_e32 v29, 16, v6
	v_fma_f16 v27, v31, v22, -v27
	v_lshlrev_b64_e32 v[25:26], 2, v[25:26]
	v_add_co_u32 v0, vcc_lo, v15, v0
	s_wait_alu 0xfffd
	v_add_co_ci_u32_e32 v1, vcc_lo, v35, v1, vcc_lo
	v_add_co_u32 v7, vcc_lo, v15, v7
	s_wait_alu 0xfffd
	v_add_co_ci_u32_e32 v8, vcc_lo, v35, v8, vcc_lo
	;; [unrolled: 3-line block ×4, first 2 shown]
	v_add_co_u32 v25, vcc_lo, v15, v25
	v_mul_f16_e32 v15, v20, v4
	s_wait_dscnt 0x1
	v_mul_f16_e32 v4, v33, v4
	v_fmac_f16_e32 v11, v19, v22
	v_mul_f16_e32 v19, v16, v28
	v_mul_f16_e32 v22, v32, v29
	v_fma_f16 v15, v33, v21, -v15
	v_fmac_f16_e32 v4, v20, v21
	v_mul_f16_e32 v20, v18, v29
	v_mul_f16_e32 v21, v17, v28
	v_fma_f16 v17, v17, v5, -v19
	v_add_f16_e32 v28, v15, v27
	v_sub_f16_e32 v29, v4, v11
	v_add_f16_e32 v30, v4, v11
	v_sub_f16_e32 v31, v15, v27
	v_add_f16_e32 v15, v13, v15
	v_add_f16_e32 v4, v14, v4
	v_fma_f16 v19, v32, v6, -v20
	v_fmac_f16_e32 v21, v16, v5
	v_fmac_f16_e32 v22, v18, v6
	v_fma_f16 v5, -0.5, v28, v13
	v_add_f16_e32 v13, v15, v27
	v_add_f16_e32 v4, v4, v11
	;; [unrolled: 1-line block ×4, first 2 shown]
	v_sub_f16_e32 v16, v17, v19
	s_wait_dscnt 0x0
	v_add_f16_e32 v17, v34, v17
	v_add_f16_e32 v18, v12, v21
	v_fma_f16 v6, -0.5, v30, v14
	v_sub_f16_e32 v14, v21, v22
	v_fma_f16 v11, -0.5, v11, v34
	v_fma_f16 v12, -0.5, v15, v12
	v_add_f16_e32 v17, v17, v19
	v_add_f16_e32 v18, v18, v22
	v_fmamk_f16 v20, v29, 0xbaee, v5
	v_fmamk_f16 v19, v14, 0xbaee, v11
	v_fmamk_f16 v21, v16, 0x3aee, v12
	v_fmac_f16_e32 v11, 0x3aee, v14
	v_fmac_f16_e32 v12, 0xbaee, v16
	v_fmamk_f16 v15, v31, 0x3aee, v6
	v_fmac_f16_e32 v5, 0x3aee, v29
	v_fmac_f16_e32 v6, 0xbaee, v31
	v_pack_b32_f16 v4, v4, v13
	v_pack_b32_f16 v13, v18, v17
	;; [unrolled: 1-line block ×5, first 2 shown]
	s_wait_alu 0xfffd
	v_add_co_ci_u32_e32 v26, vcc_lo, v35, v26, vcc_lo
	v_pack_b32_f16 v6, v15, v20
	s_clause 0x5
	global_store_b32 v[2:3], v13, off
	global_store_b32 v[0:1], v11, off
	global_store_b32 v[7:8], v12, off
	global_store_b32 v[9:10], v4, off
	global_store_b32 v[23:24], v5, off
	global_store_b32 v[25:26], v6, off
.LBB0_31:
	s_nop 0
	s_sendmsg sendmsg(MSG_DEALLOC_VGPRS)
	s_endpgm
	.section	.rodata,"a",@progbits
	.p2align	6, 0x0
	.amdhsa_kernel fft_rtc_back_len1386_factors_2_7_3_11_3_wgs_231_tpt_231_halfLds_half_op_CI_CI_sbrr_dirReg
		.amdhsa_group_segment_fixed_size 0
		.amdhsa_private_segment_fixed_size 0
		.amdhsa_kernarg_size 104
		.amdhsa_user_sgpr_count 2
		.amdhsa_user_sgpr_dispatch_ptr 0
		.amdhsa_user_sgpr_queue_ptr 0
		.amdhsa_user_sgpr_kernarg_segment_ptr 1
		.amdhsa_user_sgpr_dispatch_id 0
		.amdhsa_user_sgpr_private_segment_size 0
		.amdhsa_wavefront_size32 1
		.amdhsa_uses_dynamic_stack 0
		.amdhsa_enable_private_segment 0
		.amdhsa_system_sgpr_workgroup_id_x 1
		.amdhsa_system_sgpr_workgroup_id_y 0
		.amdhsa_system_sgpr_workgroup_id_z 0
		.amdhsa_system_sgpr_workgroup_info 0
		.amdhsa_system_vgpr_workitem_id 0
		.amdhsa_next_free_vgpr 65
		.amdhsa_next_free_sgpr 43
		.amdhsa_reserve_vcc 1
		.amdhsa_float_round_mode_32 0
		.amdhsa_float_round_mode_16_64 0
		.amdhsa_float_denorm_mode_32 3
		.amdhsa_float_denorm_mode_16_64 3
		.amdhsa_fp16_overflow 0
		.amdhsa_workgroup_processor_mode 1
		.amdhsa_memory_ordered 1
		.amdhsa_forward_progress 0
		.amdhsa_round_robin_scheduling 0
		.amdhsa_exception_fp_ieee_invalid_op 0
		.amdhsa_exception_fp_denorm_src 0
		.amdhsa_exception_fp_ieee_div_zero 0
		.amdhsa_exception_fp_ieee_overflow 0
		.amdhsa_exception_fp_ieee_underflow 0
		.amdhsa_exception_fp_ieee_inexact 0
		.amdhsa_exception_int_div_zero 0
	.end_amdhsa_kernel
	.text
.Lfunc_end0:
	.size	fft_rtc_back_len1386_factors_2_7_3_11_3_wgs_231_tpt_231_halfLds_half_op_CI_CI_sbrr_dirReg, .Lfunc_end0-fft_rtc_back_len1386_factors_2_7_3_11_3_wgs_231_tpt_231_halfLds_half_op_CI_CI_sbrr_dirReg
                                        ; -- End function
	.section	.AMDGPU.csdata,"",@progbits
; Kernel info:
; codeLenInByte = 8180
; NumSgprs: 45
; NumVgprs: 65
; ScratchSize: 0
; MemoryBound: 0
; FloatMode: 240
; IeeeMode: 1
; LDSByteSize: 0 bytes/workgroup (compile time only)
; SGPRBlocks: 5
; VGPRBlocks: 8
; NumSGPRsForWavesPerEU: 45
; NumVGPRsForWavesPerEU: 65
; Occupancy: 16
; WaveLimiterHint : 1
; COMPUTE_PGM_RSRC2:SCRATCH_EN: 0
; COMPUTE_PGM_RSRC2:USER_SGPR: 2
; COMPUTE_PGM_RSRC2:TRAP_HANDLER: 0
; COMPUTE_PGM_RSRC2:TGID_X_EN: 1
; COMPUTE_PGM_RSRC2:TGID_Y_EN: 0
; COMPUTE_PGM_RSRC2:TGID_Z_EN: 0
; COMPUTE_PGM_RSRC2:TIDIG_COMP_CNT: 0
	.text
	.p2alignl 7, 3214868480
	.fill 96, 4, 3214868480
	.type	__hip_cuid_65b8ad8611b81433,@object ; @__hip_cuid_65b8ad8611b81433
	.section	.bss,"aw",@nobits
	.globl	__hip_cuid_65b8ad8611b81433
__hip_cuid_65b8ad8611b81433:
	.byte	0                               ; 0x0
	.size	__hip_cuid_65b8ad8611b81433, 1

	.ident	"AMD clang version 19.0.0git (https://github.com/RadeonOpenCompute/llvm-project roc-6.4.0 25133 c7fe45cf4b819c5991fe208aaa96edf142730f1d)"
	.section	".note.GNU-stack","",@progbits
	.addrsig
	.addrsig_sym __hip_cuid_65b8ad8611b81433
	.amdgpu_metadata
---
amdhsa.kernels:
  - .args:
      - .actual_access:  read_only
        .address_space:  global
        .offset:         0
        .size:           8
        .value_kind:     global_buffer
      - .offset:         8
        .size:           8
        .value_kind:     by_value
      - .actual_access:  read_only
        .address_space:  global
        .offset:         16
        .size:           8
        .value_kind:     global_buffer
      - .actual_access:  read_only
        .address_space:  global
        .offset:         24
        .size:           8
        .value_kind:     global_buffer
      - .actual_access:  read_only
        .address_space:  global
        .offset:         32
        .size:           8
        .value_kind:     global_buffer
      - .offset:         40
        .size:           8
        .value_kind:     by_value
      - .actual_access:  read_only
        .address_space:  global
        .offset:         48
        .size:           8
        .value_kind:     global_buffer
      - .actual_access:  read_only
        .address_space:  global
        .offset:         56
        .size:           8
        .value_kind:     global_buffer
      - .offset:         64
        .size:           4
        .value_kind:     by_value
      - .actual_access:  read_only
        .address_space:  global
        .offset:         72
        .size:           8
        .value_kind:     global_buffer
      - .actual_access:  read_only
        .address_space:  global
        .offset:         80
        .size:           8
        .value_kind:     global_buffer
      - .actual_access:  read_only
        .address_space:  global
        .offset:         88
        .size:           8
        .value_kind:     global_buffer
      - .actual_access:  write_only
        .address_space:  global
        .offset:         96
        .size:           8
        .value_kind:     global_buffer
    .group_segment_fixed_size: 0
    .kernarg_segment_align: 8
    .kernarg_segment_size: 104
    .language:       OpenCL C
    .language_version:
      - 2
      - 0
    .max_flat_workgroup_size: 231
    .name:           fft_rtc_back_len1386_factors_2_7_3_11_3_wgs_231_tpt_231_halfLds_half_op_CI_CI_sbrr_dirReg
    .private_segment_fixed_size: 0
    .sgpr_count:     45
    .sgpr_spill_count: 0
    .symbol:         fft_rtc_back_len1386_factors_2_7_3_11_3_wgs_231_tpt_231_halfLds_half_op_CI_CI_sbrr_dirReg.kd
    .uniform_work_group_size: 1
    .uses_dynamic_stack: false
    .vgpr_count:     65
    .vgpr_spill_count: 0
    .wavefront_size: 32
    .workgroup_processor_mode: 1
amdhsa.target:   amdgcn-amd-amdhsa--gfx1201
amdhsa.version:
  - 1
  - 2
...

	.end_amdgpu_metadata
